;; amdgpu-corpus repo=ROCm/rocFFT kind=compiled arch=gfx906 opt=O3
	.text
	.amdgcn_target "amdgcn-amd-amdhsa--gfx906"
	.amdhsa_code_object_version 6
	.protected	fft_rtc_back_len312_factors_13_4_3_2_wgs_52_tpt_26_sp_op_CI_CI_unitstride_sbrr_C2R_dirReg ; -- Begin function fft_rtc_back_len312_factors_13_4_3_2_wgs_52_tpt_26_sp_op_CI_CI_unitstride_sbrr_C2R_dirReg
	.globl	fft_rtc_back_len312_factors_13_4_3_2_wgs_52_tpt_26_sp_op_CI_CI_unitstride_sbrr_C2R_dirReg
	.p2align	8
	.type	fft_rtc_back_len312_factors_13_4_3_2_wgs_52_tpt_26_sp_op_CI_CI_unitstride_sbrr_C2R_dirReg,@function
fft_rtc_back_len312_factors_13_4_3_2_wgs_52_tpt_26_sp_op_CI_CI_unitstride_sbrr_C2R_dirReg: ; @fft_rtc_back_len312_factors_13_4_3_2_wgs_52_tpt_26_sp_op_CI_CI_unitstride_sbrr_C2R_dirReg
; %bb.0:
	s_load_dwordx4 s[8:11], s[4:5], 0x58
	s_load_dwordx4 s[12:15], s[4:5], 0x0
	;; [unrolled: 1-line block ×3, first 2 shown]
	v_mul_u32_u24_e32 v1, 0x9d9, v0
	v_lshrrev_b32_e32 v7, 16, v1
	v_mov_b32_e32 v3, 0
	s_waitcnt lgkmcnt(0)
	v_cmp_lt_u64_e64 s[0:1], s[14:15], 2
	v_mov_b32_e32 v1, 0
	v_lshl_add_u32 v5, s6, 1, v7
	v_mov_b32_e32 v6, v3
	s_and_b64 vcc, exec, s[0:1]
	v_mov_b32_e32 v2, 0
	s_cbranch_vccnz .LBB0_8
; %bb.1:
	s_load_dwordx2 s[0:1], s[4:5], 0x10
	s_add_u32 s2, s18, 8
	s_addc_u32 s3, s19, 0
	s_add_u32 s6, s16, 8
	v_mov_b32_e32 v1, 0
	s_addc_u32 s7, s17, 0
	v_mov_b32_e32 v2, 0
	s_waitcnt lgkmcnt(0)
	s_add_u32 s20, s0, 8
	v_mov_b32_e32 v25, v2
	s_addc_u32 s21, s1, 0
	s_mov_b64 s[22:23], 1
	v_mov_b32_e32 v24, v1
.LBB0_2:                                ; =>This Inner Loop Header: Depth=1
	s_load_dwordx2 s[24:25], s[20:21], 0x0
                                        ; implicit-def: $vgpr26_vgpr27
	s_waitcnt lgkmcnt(0)
	v_or_b32_e32 v4, s25, v6
	v_cmp_ne_u64_e32 vcc, 0, v[3:4]
	s_and_saveexec_b64 s[0:1], vcc
	s_xor_b64 s[26:27], exec, s[0:1]
	s_cbranch_execz .LBB0_4
; %bb.3:                                ;   in Loop: Header=BB0_2 Depth=1
	v_cvt_f32_u32_e32 v4, s24
	v_cvt_f32_u32_e32 v8, s25
	s_sub_u32 s0, 0, s24
	s_subb_u32 s1, 0, s25
	v_mac_f32_e32 v4, 0x4f800000, v8
	v_rcp_f32_e32 v4, v4
	v_mul_f32_e32 v4, 0x5f7ffffc, v4
	v_mul_f32_e32 v8, 0x2f800000, v4
	v_trunc_f32_e32 v8, v8
	v_mac_f32_e32 v4, 0xcf800000, v8
	v_cvt_u32_f32_e32 v8, v8
	v_cvt_u32_f32_e32 v4, v4
	v_mul_lo_u32 v9, s0, v8
	v_mul_hi_u32 v10, s0, v4
	v_mul_lo_u32 v12, s1, v4
	v_mul_lo_u32 v11, s0, v4
	v_add_u32_e32 v9, v10, v9
	v_add_u32_e32 v9, v9, v12
	v_mul_hi_u32 v10, v4, v11
	v_mul_lo_u32 v12, v4, v9
	v_mul_hi_u32 v14, v4, v9
	v_mul_hi_u32 v13, v8, v11
	v_mul_lo_u32 v11, v8, v11
	v_mul_hi_u32 v15, v8, v9
	v_add_co_u32_e32 v10, vcc, v10, v12
	v_addc_co_u32_e32 v12, vcc, 0, v14, vcc
	v_mul_lo_u32 v9, v8, v9
	v_add_co_u32_e32 v10, vcc, v10, v11
	v_addc_co_u32_e32 v10, vcc, v12, v13, vcc
	v_addc_co_u32_e32 v11, vcc, 0, v15, vcc
	v_add_co_u32_e32 v9, vcc, v10, v9
	v_addc_co_u32_e32 v10, vcc, 0, v11, vcc
	v_add_co_u32_e32 v4, vcc, v4, v9
	v_addc_co_u32_e32 v8, vcc, v8, v10, vcc
	v_mul_lo_u32 v9, s0, v8
	v_mul_hi_u32 v10, s0, v4
	v_mul_lo_u32 v11, s1, v4
	v_mul_lo_u32 v12, s0, v4
	v_add_u32_e32 v9, v10, v9
	v_add_u32_e32 v9, v9, v11
	v_mul_lo_u32 v13, v4, v9
	v_mul_hi_u32 v14, v4, v12
	v_mul_hi_u32 v15, v4, v9
	;; [unrolled: 1-line block ×3, first 2 shown]
	v_mul_lo_u32 v12, v8, v12
	v_mul_hi_u32 v10, v8, v9
	v_add_co_u32_e32 v13, vcc, v14, v13
	v_addc_co_u32_e32 v14, vcc, 0, v15, vcc
	v_mul_lo_u32 v9, v8, v9
	v_add_co_u32_e32 v12, vcc, v13, v12
	v_addc_co_u32_e32 v11, vcc, v14, v11, vcc
	v_addc_co_u32_e32 v10, vcc, 0, v10, vcc
	v_add_co_u32_e32 v9, vcc, v11, v9
	v_addc_co_u32_e32 v10, vcc, 0, v10, vcc
	v_add_co_u32_e32 v4, vcc, v4, v9
	v_addc_co_u32_e32 v10, vcc, v8, v10, vcc
	v_mad_u64_u32 v[8:9], s[0:1], v5, v10, 0
	v_mul_hi_u32 v11, v5, v4
	v_add_co_u32_e32 v12, vcc, v11, v8
	v_addc_co_u32_e32 v13, vcc, 0, v9, vcc
	v_mad_u64_u32 v[8:9], s[0:1], v6, v4, 0
	v_mad_u64_u32 v[10:11], s[0:1], v6, v10, 0
	v_add_co_u32_e32 v4, vcc, v12, v8
	v_addc_co_u32_e32 v4, vcc, v13, v9, vcc
	v_addc_co_u32_e32 v8, vcc, 0, v11, vcc
	v_add_co_u32_e32 v4, vcc, v4, v10
	v_addc_co_u32_e32 v10, vcc, 0, v8, vcc
	v_mul_lo_u32 v11, s25, v4
	v_mul_lo_u32 v12, s24, v10
	v_mad_u64_u32 v[8:9], s[0:1], s24, v4, 0
	v_add3_u32 v9, v9, v12, v11
	v_sub_u32_e32 v11, v6, v9
	v_mov_b32_e32 v12, s25
	v_sub_co_u32_e32 v8, vcc, v5, v8
	v_subb_co_u32_e64 v11, s[0:1], v11, v12, vcc
	v_subrev_co_u32_e64 v12, s[0:1], s24, v8
	v_subbrev_co_u32_e64 v11, s[0:1], 0, v11, s[0:1]
	v_cmp_le_u32_e64 s[0:1], s25, v11
	v_cndmask_b32_e64 v13, 0, -1, s[0:1]
	v_cmp_le_u32_e64 s[0:1], s24, v12
	v_cndmask_b32_e64 v12, 0, -1, s[0:1]
	v_cmp_eq_u32_e64 s[0:1], s25, v11
	v_cndmask_b32_e64 v11, v13, v12, s[0:1]
	v_add_co_u32_e64 v12, s[0:1], 2, v4
	v_addc_co_u32_e64 v13, s[0:1], 0, v10, s[0:1]
	v_add_co_u32_e64 v14, s[0:1], 1, v4
	v_addc_co_u32_e64 v15, s[0:1], 0, v10, s[0:1]
	v_subb_co_u32_e32 v9, vcc, v6, v9, vcc
	v_cmp_ne_u32_e64 s[0:1], 0, v11
	v_cmp_le_u32_e32 vcc, s25, v9
	v_cndmask_b32_e64 v11, v15, v13, s[0:1]
	v_cndmask_b32_e64 v13, 0, -1, vcc
	v_cmp_le_u32_e32 vcc, s24, v8
	v_cndmask_b32_e64 v8, 0, -1, vcc
	v_cmp_eq_u32_e32 vcc, s25, v9
	v_cndmask_b32_e32 v8, v13, v8, vcc
	v_cmp_ne_u32_e32 vcc, 0, v8
	v_cndmask_b32_e64 v8, v14, v12, s[0:1]
	v_cndmask_b32_e32 v27, v10, v11, vcc
	v_cndmask_b32_e32 v26, v4, v8, vcc
.LBB0_4:                                ;   in Loop: Header=BB0_2 Depth=1
	s_andn2_saveexec_b64 s[0:1], s[26:27]
	s_cbranch_execz .LBB0_6
; %bb.5:                                ;   in Loop: Header=BB0_2 Depth=1
	v_cvt_f32_u32_e32 v4, s24
	s_sub_i32 s26, 0, s24
	v_mov_b32_e32 v27, v3
	v_rcp_iflag_f32_e32 v4, v4
	v_mul_f32_e32 v4, 0x4f7ffffe, v4
	v_cvt_u32_f32_e32 v4, v4
	v_mul_lo_u32 v8, s26, v4
	v_mul_hi_u32 v8, v4, v8
	v_add_u32_e32 v4, v4, v8
	v_mul_hi_u32 v4, v5, v4
	v_mul_lo_u32 v8, v4, s24
	v_add_u32_e32 v9, 1, v4
	v_sub_u32_e32 v8, v5, v8
	v_subrev_u32_e32 v10, s24, v8
	v_cmp_le_u32_e32 vcc, s24, v8
	v_cndmask_b32_e32 v8, v8, v10, vcc
	v_cndmask_b32_e32 v4, v4, v9, vcc
	v_add_u32_e32 v9, 1, v4
	v_cmp_le_u32_e32 vcc, s24, v8
	v_cndmask_b32_e32 v26, v4, v9, vcc
.LBB0_6:                                ;   in Loop: Header=BB0_2 Depth=1
	s_or_b64 exec, exec, s[0:1]
	v_mul_lo_u32 v4, v27, s24
	v_mul_lo_u32 v10, v26, s25
	v_mad_u64_u32 v[8:9], s[0:1], v26, s24, 0
	s_load_dwordx2 s[0:1], s[6:7], 0x0
	s_load_dwordx2 s[24:25], s[2:3], 0x0
	v_add3_u32 v4, v9, v10, v4
	v_sub_co_u32_e32 v5, vcc, v5, v8
	v_subb_co_u32_e32 v4, vcc, v6, v4, vcc
	s_waitcnt lgkmcnt(0)
	v_mul_lo_u32 v6, s0, v4
	v_mul_lo_u32 v8, s1, v5
	v_mad_u64_u32 v[1:2], s[0:1], s0, v5, v[1:2]
	v_mul_lo_u32 v4, s24, v4
	v_mul_lo_u32 v9, s25, v5
	v_mad_u64_u32 v[24:25], s[0:1], s24, v5, v[24:25]
	s_add_u32 s22, s22, 1
	s_addc_u32 s23, s23, 0
	s_add_u32 s2, s2, 8
	v_add3_u32 v25, v9, v25, v4
	s_addc_u32 s3, s3, 0
	v_mov_b32_e32 v4, s14
	s_add_u32 s6, s6, 8
	v_mov_b32_e32 v5, s15
	s_addc_u32 s7, s7, 0
	v_cmp_ge_u64_e32 vcc, s[22:23], v[4:5]
	s_add_u32 s20, s20, 8
	v_add3_u32 v2, v8, v2, v6
	s_addc_u32 s21, s21, 0
	s_cbranch_vccnz .LBB0_9
; %bb.7:                                ;   in Loop: Header=BB0_2 Depth=1
	v_mov_b32_e32 v5, v26
	v_mov_b32_e32 v6, v27
	s_branch .LBB0_2
.LBB0_8:
	v_mov_b32_e32 v25, v2
	v_mov_b32_e32 v27, v6
	;; [unrolled: 1-line block ×4, first 2 shown]
.LBB0_9:
	s_load_dwordx2 s[2:3], s[4:5], 0x28
	s_lshl_b64 s[6:7], s[14:15], 3
	s_add_u32 s14, s18, s6
	v_and_b32_e32 v3, 1, v7
	s_addc_u32 s15, s19, s7
	s_waitcnt lgkmcnt(0)
	v_cmp_gt_u64_e32 vcc, s[2:3], v[26:27]
	v_cmp_le_u64_e64 s[2:3], s[2:3], v[26:27]
	v_cmp_eq_u32_e64 s[0:1], 1, v3
	v_mov_b32_e32 v5, 0x139
                                        ; implicit-def: $vgpr31
                                        ; implicit-def: $vgpr3_vgpr4
	s_and_saveexec_b64 s[4:5], s[2:3]
	s_xor_b64 s[2:3], exec, s[4:5]
; %bb.10:
	s_mov_b32 s4, 0x9d89d8a
	v_mul_hi_u32 v1, v0, s4
	v_mov_b32_e32 v32, 0
	v_mul_u32_u24_e32 v1, 26, v1
	v_sub_u32_e32 v31, v0, v1
	v_mov_b32_e32 v3, v31
	v_mov_b32_e32 v4, v32
                                        ; implicit-def: $vgpr0
                                        ; implicit-def: $vgpr1_vgpr2
; %bb.11:
	s_or_saveexec_b64 s[4:5], s[2:3]
	s_load_dwordx2 s[2:3], s[14:15], 0x0
	v_cndmask_b32_e64 v5, 0, v5, s[0:1]
	v_lshlrev_b32_e32 v39, 3, v5
                                        ; implicit-def: $vgpr28
	s_xor_b64 exec, exec, s[4:5]
	s_cbranch_execz .LBB0_15
; %bb.12:
	s_add_u32 s0, s16, s6
	s_addc_u32 s1, s17, s7
	s_load_dwordx2 s[0:1], s[0:1], 0x0
	s_mov_b32 s6, 0x9d89d8a
	v_mul_hi_u32 v6, v0, s6
	v_mov_b32_e32 v32, 0
	s_waitcnt lgkmcnt(0)
	v_mul_lo_u32 v7, s1, v26
	v_mul_lo_u32 v8, s0, v27
	v_mad_u64_u32 v[3:4], s[0:1], s0, v26, 0
	v_mul_u32_u24_e32 v6, 26, v6
	v_sub_u32_e32 v31, v0, v6
	v_add3_u32 v4, v4, v8, v7
	v_lshlrev_b64 v[3:4], 3, v[3:4]
	v_mov_b32_e32 v0, s9
	v_add_co_u32_e64 v3, s[0:1], s8, v3
	v_addc_co_u32_e64 v4, s[0:1], v0, v4, s[0:1]
	v_lshlrev_b64 v[0:1], 3, v[1:2]
	v_add_co_u32_e64 v0, s[0:1], v3, v0
	v_addc_co_u32_e64 v1, s[0:1], v4, v1, s[0:1]
	v_lshlrev_b32_e32 v4, 3, v31
	v_add_co_u32_e64 v2, s[0:1], v0, v4
	v_addc_co_u32_e64 v3, s[0:1], 0, v1, s[0:1]
	global_load_dwordx2 v[6:7], v[2:3], off
	global_load_dwordx2 v[8:9], v[2:3], off offset:208
	global_load_dwordx2 v[10:11], v[2:3], off offset:416
	;; [unrolled: 1-line block ×11, first 2 shown]
	v_add3_u32 v2, 0, v39, v4
	v_add_u32_e32 v3, 0x800, v2
	v_cmp_eq_u32_e64 s[0:1], 25, v31
	s_waitcnt vmcnt(10)
	ds_write2_b64 v2, v[6:7], v[8:9] offset1:26
	s_waitcnt vmcnt(8)
	ds_write2_b64 v2, v[10:11], v[12:13] offset0:52 offset1:78
	s_waitcnt vmcnt(6)
	ds_write2_b64 v2, v[14:15], v[16:17] offset0:104 offset1:130
	;; [unrolled: 2-line block ×5, first 2 shown]
	v_mov_b32_e32 v3, v31
	v_mov_b32_e32 v4, v32
	s_and_saveexec_b64 s[6:7], s[0:1]
	s_cbranch_execz .LBB0_14
; %bb.13:
	global_load_dwordx2 v[0:1], v[0:1], off offset:2496
	v_mov_b32_e32 v3, 25
	v_mov_b32_e32 v4, 0
	;; [unrolled: 1-line block ×3, first 2 shown]
	s_waitcnt vmcnt(0)
	ds_write_b64 v2, v[0:1] offset:2296
.LBB0_14:
	s_or_b64 exec, exec, s[6:7]
	v_mov_b32_e32 v28, v31
.LBB0_15:
	s_or_b64 exec, exec, s[4:5]
	v_lshl_add_u32 v37, v5, 3, 0
	v_lshlrev_b32_e32 v0, 3, v31
	v_add_u32_e32 v38, v37, v0
	s_waitcnt lgkmcnt(0)
	; wave barrier
	s_waitcnt lgkmcnt(0)
	v_sub_u32_e32 v2, v37, v0
	ds_read_b32 v6, v38
	ds_read_b32 v7, v2 offset:2496
	v_lshlrev_b64 v[29:30], 3, v[3:4]
	v_cmp_ne_u32_e64 s[0:1], 0, v31
	s_waitcnt lgkmcnt(0)
	v_add_f32_e32 v0, v7, v6
	v_sub_f32_e32 v1, v6, v7
	s_and_saveexec_b64 s[4:5], s[0:1]
	s_xor_b64 s[4:5], exec, s[4:5]
	s_cbranch_execz .LBB0_17
; %bb.16:
	v_mov_b32_e32 v1, s13
	v_add_co_u32_e64 v0, s[0:1], s12, v29
	v_addc_co_u32_e64 v1, s[0:1], v1, v30, s[0:1]
	global_load_dwordx2 v[3:4], v[0:1], off offset:2392
	ds_read_b32 v0, v2 offset:2500
	ds_read_b32 v1, v38 offset:4
	v_add_f32_e32 v8, v7, v6
	v_sub_f32_e32 v9, v6, v7
	s_waitcnt lgkmcnt(0)
	v_add_f32_e32 v10, v0, v1
	v_sub_f32_e32 v0, v1, v0
	s_waitcnt vmcnt(0)
	v_fma_f32 v6, -v9, v4, v8
	v_fma_f32 v7, v10, v4, -v0
	v_fma_f32 v11, v9, v4, v8
	v_fma_f32 v1, v10, v4, v0
	v_fmac_f32_e32 v6, v3, v10
	v_fmac_f32_e32 v7, v9, v3
	v_fma_f32 v0, -v3, v10, v11
	v_fmac_f32_e32 v1, v9, v3
	ds_write_b64 v2, v[6:7] offset:2496
.LBB0_17:
	s_andn2_saveexec_b64 s[0:1], s[4:5]
	s_cbranch_execz .LBB0_19
; %bb.18:
	ds_read_b64 v[3:4], v37 offset:1248
	s_waitcnt lgkmcnt(0)
	v_add_f32_e32 v3, v3, v3
	v_mul_f32_e32 v4, -2.0, v4
	ds_write_b64 v37, v[3:4] offset:1248
.LBB0_19:
	s_or_b64 exec, exec, s[0:1]
	v_mov_b32_e32 v32, 0
	s_add_u32 s0, s12, 0x958
	v_lshlrev_b64 v[33:34], 3, v[31:32]
	s_addc_u32 s1, s13, 0
	v_mov_b32_e32 v4, s1
	v_add_co_u32_e64 v3, s[0:1], s0, v33
	v_addc_co_u32_e64 v4, s[0:1], v4, v34, s[0:1]
	global_load_dwordx2 v[6:7], v[3:4], off offset:208
	global_load_dwordx2 v[8:9], v[3:4], off offset:416
	;; [unrolled: 1-line block ×4, first 2 shown]
	ds_write_b64 v38, v[0:1]
	ds_read_b64 v[0:1], v38 offset:208
	ds_read_b64 v[14:15], v2 offset:2288
	global_load_dwordx2 v[3:4], v[3:4], off offset:1040
	v_lshl_add_u32 v41, v31, 3, 0
	v_lshl_add_u32 v40, v5, 3, v41
	v_cmp_gt_u32_e64 s[0:1], 24, v31
	s_waitcnt lgkmcnt(0)
	v_add_f32_e32 v16, v0, v14
	v_add_f32_e32 v17, v15, v1
	v_sub_f32_e32 v18, v0, v14
	v_sub_f32_e32 v14, v1, v15
	s_waitcnt vmcnt(4)
	v_fma_f32 v19, v18, v7, v16
	v_fma_f32 v15, v17, v7, v14
	v_fma_f32 v0, -v18, v7, v16
	v_fma_f32 v1, v17, v7, -v14
	v_fma_f32 v14, -v6, v17, v19
	v_fmac_f32_e32 v15, v18, v6
	v_fmac_f32_e32 v0, v6, v17
	v_fmac_f32_e32 v1, v18, v6
	ds_write_b64 v38, v[14:15] offset:208
	ds_write_b64 v2, v[0:1] offset:2288
	ds_read_b64 v[0:1], v38 offset:416
	ds_read_b64 v[6:7], v2 offset:2080
	s_waitcnt lgkmcnt(0)
	v_add_f32_e32 v14, v0, v6
	v_add_f32_e32 v15, v7, v1
	v_sub_f32_e32 v16, v0, v6
	v_sub_f32_e32 v6, v1, v7
	s_waitcnt vmcnt(3)
	v_fma_f32 v17, v16, v9, v14
	v_fma_f32 v7, v15, v9, v6
	v_fma_f32 v0, -v16, v9, v14
	v_fma_f32 v1, v15, v9, -v6
	v_fma_f32 v6, -v8, v15, v17
	v_fmac_f32_e32 v7, v16, v8
	v_fmac_f32_e32 v0, v8, v15
	v_fmac_f32_e32 v1, v16, v8
	ds_write_b64 v38, v[6:7] offset:416
	ds_write_b64 v2, v[0:1] offset:2080
	ds_read_b64 v[0:1], v38 offset:624
	ds_read_b64 v[6:7], v2 offset:1872
	;; [unrolled: 18-line block ×4, first 2 shown]
	v_add_u32_e32 v8, 0x800, v40
	s_waitcnt lgkmcnt(0)
	v_add_f32_e32 v5, v0, v6
	v_add_f32_e32 v9, v7, v1
	v_sub_f32_e32 v10, v0, v6
	v_sub_f32_e32 v0, v1, v7
	s_waitcnt vmcnt(0)
	v_fma_f32 v7, v10, v4, v5
	v_fma_f32 v1, v9, v4, v0
	v_fma_f32 v5, -v10, v4, v5
	v_fma_f32 v6, v9, v4, -v0
	v_fma_f32 v0, -v3, v9, v7
	v_fmac_f32_e32 v1, v10, v3
	v_fmac_f32_e32 v5, v3, v9
	;; [unrolled: 1-line block ×3, first 2 shown]
	ds_write_b64 v38, v[0:1] offset:1040
	ds_write_b64 v2, v[5:6] offset:1456
	s_waitcnt lgkmcnt(0)
	; wave barrier
	s_waitcnt lgkmcnt(0)
	s_waitcnt lgkmcnt(0)
	; wave barrier
	s_waitcnt lgkmcnt(0)
	ds_read_b64 v[35:36], v38
	ds_read2_b64 v[4:7], v40 offset0:24 offset1:48
	ds_read2_b64 v[12:15], v40 offset0:72 offset1:96
	;; [unrolled: 1-line block ×6, first 2 shown]
	s_waitcnt lgkmcnt(0)
	; wave barrier
	s_waitcnt lgkmcnt(0)
	s_and_saveexec_b64 s[4:5], s[0:1]
	s_cbranch_execz .LBB0_21
; %bb.20:
	v_add_f32_e32 v54, v36, v5
	v_add_f32_e32 v54, v54, v7
	;; [unrolled: 1-line block ×5, first 2 shown]
	v_sub_f32_e32 v51, v21, v19
	v_add_f32_e32 v21, v54, v21
	v_add_f32_e32 v54, v35, v4
	;; [unrolled: 1-line block ×3, first 2 shown]
	v_sub_f32_e32 v42, v4, v2
	v_add_f32_e32 v54, v54, v12
	v_mul_f32_e32 v52, 0xbf7e222b, v42
	v_add_f32_e32 v54, v54, v14
	v_add_f32_e32 v49, v3, v5
	v_mov_b32_e32 v43, v52
	v_sub_f32_e32 v44, v20, v18
	v_add_f32_e32 v46, v18, v20
	v_add_f32_e32 v20, v54, v20
	v_fmac_f32_e32 v43, 0x3df6dbef, v49
	v_add_f32_e32 v20, v20, v22
	v_add_f32_e32 v53, v36, v43
	v_sub_f32_e32 v43, v6, v0
	v_sub_f32_e32 v45, v22, v16
	v_add_f32_e32 v47, v16, v22
	v_add_f32_e32 v21, v21, v23
	;; [unrolled: 1-line block ×4, first 2 shown]
	v_sub_f32_e32 v22, v23, v17
	v_sub_f32_e32 v55, v14, v8
	v_add_f32_e32 v17, v21, v17
	v_add_f32_e32 v16, v16, v18
	;; [unrolled: 1-line block ×3, first 2 shown]
	v_mul_f32_e32 v14, 0xbe750f2a, v43
	v_sub_f32_e32 v54, v12, v10
	v_add_f32_e32 v17, v17, v19
	v_add_f32_e32 v56, v10, v12
	;; [unrolled: 1-line block ×3, first 2 shown]
	v_mov_b32_e32 v12, v14
	v_add_f32_e32 v8, v16, v8
	v_add_f32_e32 v18, v9, v15
	v_sub_f32_e32 v20, v15, v9
	v_fmac_f32_e32 v12, 0xbf788fa5, v21
	v_add_f32_e32 v9, v17, v9
	v_add_f32_e32 v8, v8, v10
	v_sub_f32_e32 v58, v5, v3
	v_add_f32_e32 v12, v12, v53
	s_mov_b32 s1, 0x3df6dbef
	v_add_f32_e32 v9, v9, v11
	v_add_f32_e32 v53, v2, v4
	;; [unrolled: 1-line block ×3, first 2 shown]
	v_sub_f32_e32 v60, v7, v1
	v_mul_f32_e32 v61, 0xbf7e222b, v58
	v_add_f32_e32 v0, v8, v0
	v_sub_f32_e32 v19, v13, v11
	s_mov_b32 s0, 0xbf788fa5
	v_add_f32_e32 v1, v9, v1
	v_add_f32_e32 v0, v0, v2
	v_fma_f32 v2, v53, s1, -v61
	v_mul_f32_e32 v62, 0xbe750f2a, v60
	v_mul_f32_e32 v15, 0x3f6f5d39, v54
	s_mov_b32 s6, 0xbeb58ec6
	v_add_f32_e32 v1, v1, v3
	v_add_f32_e32 v2, v35, v2
	v_fma_f32 v3, v59, s0, -v62
	v_mul_f32_e32 v63, 0x3f6f5d39, v19
	v_add_f32_e32 v23, v11, v13
	v_mov_b32_e32 v13, v15
	v_mul_f32_e32 v16, 0x3eedf032, v55
	s_mov_b32 s7, 0x3f62ad3f
	v_add_f32_e32 v2, v3, v2
	v_fma_f32 v3, v56, s6, -v63
	v_mul_f32_e32 v64, 0x3eedf032, v20
	v_fmac_f32_e32 v13, 0xbeb58ec6, v23
	v_mov_b32_e32 v10, v16
	v_mul_f32_e32 v17, 0xbf52af12, v44
	s_mov_b32 s8, 0x3f116cb1
	v_add_f32_e32 v2, v3, v2
	v_fma_f32 v3, v57, s7, -v64
	v_mul_f32_e32 v65, 0xbf52af12, v51
	v_add_f32_e32 v12, v13, v12
	v_fmac_f32_e32 v10, 0x3f62ad3f, v18
	v_mov_b32_e32 v4, v17
	v_add_f32_e32 v2, v3, v2
	v_fma_f32 v3, v46, s8, -v65
	v_mul_f32_e32 v66, 0xbf29c268, v45
	v_add_f32_e32 v10, v10, v12
	v_fmac_f32_e32 v4, 0x3f116cb1, v50
	v_add_f32_e32 v2, v3, v2
	v_mov_b32_e32 v3, v66
	v_add_f32_e32 v4, v4, v10
	s_mov_b32 s9, 0xbf3f9e67
	v_fmac_f32_e32 v3, 0xbf3f9e67, v48
	v_mul_f32_e32 v67, 0xbf29c268, v22
	v_add_f32_e32 v3, v3, v4
	v_fma_f32 v4, v47, s9, -v67
	v_mul_f32_e32 v12, 0xbf6f5d39, v42
	v_add_f32_e32 v2, v4, v2
	v_mov_b32_e32 v4, v12
	v_mul_f32_e32 v13, 0x3f29c268, v43
	v_fmac_f32_e32 v4, 0xbeb58ec6, v49
	v_mov_b32_e32 v5, v13
	v_add_f32_e32 v4, v36, v4
	v_fmac_f32_e32 v5, 0xbf3f9e67, v21
	v_mul_f32_e32 v68, 0x3eedf032, v54
	v_add_f32_e32 v4, v5, v4
	v_mov_b32_e32 v5, v68
	v_fmac_f32_e32 v5, 0x3f62ad3f, v23
	v_mul_f32_e32 v69, 0xbf7e222b, v55
	v_fma_f32 v52, v49, s1, -v52
	v_add_f32_e32 v4, v5, v4
	v_mov_b32_e32 v5, v69
	v_add_f32_e32 v52, v36, v52
	v_fma_f32 v14, v21, s0, -v14
	v_fmac_f32_e32 v5, 0x3df6dbef, v18
	v_mul_f32_e32 v70, 0x3e750f2a, v44
	v_add_f32_e32 v14, v14, v52
	v_fma_f32 v15, v23, s6, -v15
	v_add_f32_e32 v4, v5, v4
	v_mov_b32_e32 v5, v70
	v_add_f32_e32 v14, v15, v14
	v_fma_f32 v15, v18, s7, -v16
	v_fmac_f32_e32 v5, 0xbf788fa5, v50
	v_mul_f32_e32 v71, 0xbf6f5d39, v58
	v_add_f32_e32 v14, v15, v14
	v_fma_f32 v15, v50, s8, -v17
	v_fmac_f32_e32 v61, 0x3df6dbef, v53
	v_add_f32_e32 v4, v5, v4
	v_fma_f32 v5, v53, s6, -v71
	v_mul_f32_e32 v72, 0x3f29c268, v60
	v_add_f32_e32 v14, v15, v14
	v_add_f32_e32 v15, v35, v61
	v_fmac_f32_e32 v62, 0xbf788fa5, v59
	v_add_f32_e32 v5, v35, v5
	v_fma_f32 v6, v59, s9, -v72
	v_mul_f32_e32 v73, 0x3eedf032, v19
	v_add_f32_e32 v15, v62, v15
	v_fmac_f32_e32 v63, 0xbeb58ec6, v56
	v_add_f32_e32 v5, v6, v5
	v_fma_f32 v6, v56, s7, -v73
	v_mul_f32_e32 v74, 0xbf7e222b, v20
	;; [unrolled: 5-line block ×4, first 2 shown]
	v_add_f32_e32 v16, v65, v15
	v_fma_f32 v15, v48, s9, -v66
	v_fmac_f32_e32 v67, 0xbf3f9e67, v47
	v_mul_f32_e32 v52, 0x3f116cb1, v49
	v_add_f32_e32 v6, v6, v5
	v_mov_b32_e32 v5, v76
	v_add_f32_e32 v15, v15, v14
	v_add_f32_e32 v14, v67, v16
	v_mov_b32_e32 v16, v52
	v_mul_f32_e32 v61, 0xbeb58ec6, v21
	v_fmac_f32_e32 v5, 0x3f116cb1, v48
	v_mul_f32_e32 v77, 0x3f52af12, v22
	v_fmac_f32_e32 v16, 0x3f52af12, v42
	v_mov_b32_e32 v17, v61
	v_add_f32_e32 v5, v5, v4
	v_fma_f32 v4, v47, s8, -v77
	v_mul_f32_e32 v10, 0xbf29c268, v42
	v_add_f32_e32 v16, v36, v16
	v_fmac_f32_e32 v17, 0x3f6f5d39, v43
	v_mul_f32_e32 v62, 0xbf788fa5, v23
	v_add_f32_e32 v4, v4, v6
	v_mov_b32_e32 v6, v10
	v_mul_f32_e32 v11, 0x3f7e222b, v43
	v_fma_f32 v12, v49, s6, -v12
	v_add_f32_e32 v16, v17, v16
	v_mov_b32_e32 v17, v62
	v_fmac_f32_e32 v6, 0xbf3f9e67, v49
	v_mov_b32_e32 v7, v11
	v_add_f32_e32 v12, v36, v12
	v_fma_f32 v13, v21, s9, -v13
	v_fmac_f32_e32 v17, 0x3e750f2a, v54
	v_mul_f32_e32 v63, 0xbf3f9e67, v18
	v_add_f32_e32 v6, v36, v6
	v_fmac_f32_e32 v7, 0x3df6dbef, v21
	v_mul_f32_e32 v78, 0xbf52af12, v54
	v_add_f32_e32 v12, v13, v12
	v_fma_f32 v13, v23, s7, -v68
	v_add_f32_e32 v16, v17, v16
	v_mov_b32_e32 v17, v63
	v_add_f32_e32 v6, v7, v6
	v_mov_b32_e32 v7, v78
	v_add_f32_e32 v12, v13, v12
	v_fma_f32 v13, v18, s1, -v69
	v_fmac_f32_e32 v17, 0xbf29c268, v55
	v_mul_f32_e32 v64, 0x3df6dbef, v50
	v_fmac_f32_e32 v7, 0x3f116cb1, v23
	v_mul_f32_e32 v79, 0x3e750f2a, v55
	v_add_f32_e32 v12, v13, v12
	v_fma_f32 v13, v50, s0, -v70
	v_fmac_f32_e32 v71, 0xbeb58ec6, v53
	v_add_f32_e32 v16, v17, v16
	v_mov_b32_e32 v17, v64
	v_add_f32_e32 v6, v7, v6
	v_mov_b32_e32 v7, v79
	v_add_f32_e32 v12, v13, v12
	v_add_f32_e32 v13, v35, v71
	v_fmac_f32_e32 v72, 0xbf3f9e67, v59
	v_fmac_f32_e32 v17, 0xbf7e222b, v44
	v_mul_f32_e32 v65, 0xbf52af12, v58
	v_fmac_f32_e32 v7, 0xbf788fa5, v18
	v_mul_f32_e32 v80, 0x3eedf032, v44
	v_add_f32_e32 v13, v72, v13
	v_fmac_f32_e32 v73, 0x3f62ad3f, v56
	v_add_f32_e32 v16, v17, v16
	v_mov_b32_e32 v17, v65
	v_mul_f32_e32 v66, 0xbf6f5d39, v60
	v_add_f32_e32 v6, v7, v6
	v_mov_b32_e32 v7, v80
	v_add_f32_e32 v13, v73, v13
	v_fmac_f32_e32 v74, 0x3df6dbef, v57
	v_fmac_f32_e32 v17, 0x3f116cb1, v53
	v_mov_b32_e32 v67, v66
	v_fmac_f32_e32 v7, 0x3f62ad3f, v50
	v_mul_f32_e32 v81, 0xbf29c268, v58
	v_add_f32_e32 v13, v74, v13
	v_fmac_f32_e32 v75, 0xbf788fa5, v46
	v_add_f32_e32 v17, v35, v17
	v_fmac_f32_e32 v67, 0xbeb58ec6, v59
	v_add_f32_e32 v6, v7, v6
	v_fma_f32 v7, v53, s9, -v81
	v_mul_f32_e32 v82, 0x3f7e222b, v60
	v_add_f32_e32 v68, v75, v13
	v_fma_f32 v13, v48, s8, -v76
	v_fmac_f32_e32 v77, 0x3f116cb1, v47
	v_add_f32_e32 v17, v67, v17
	v_mul_f32_e32 v67, 0xbe750f2a, v19
	v_add_f32_e32 v7, v35, v7
	v_fma_f32 v8, v59, s1, -v82
	v_mul_f32_e32 v83, 0xbf52af12, v19
	v_add_f32_e32 v13, v13, v12
	v_add_f32_e32 v12, v77, v68
	v_mov_b32_e32 v68, v67
	v_add_f32_e32 v7, v8, v7
	v_fma_f32 v8, v56, s8, -v83
	v_mul_f32_e32 v84, 0x3e750f2a, v20
	v_fmac_f32_e32 v68, 0xbf788fa5, v56
	v_add_f32_e32 v7, v8, v7
	v_fma_f32 v8, v57, s0, -v84
	v_mul_f32_e32 v85, 0x3eedf032, v51
	v_add_f32_e32 v17, v68, v17
	v_mul_f32_e32 v68, 0x3f29c268, v20
	v_add_f32_e32 v7, v8, v7
	v_fma_f32 v8, v46, s7, -v85
	v_mul_f32_e32 v86, 0xbf6f5d39, v45
	v_mov_b32_e32 v69, v68
	v_add_f32_e32 v8, v8, v7
	v_mov_b32_e32 v7, v86
	v_fmac_f32_e32 v69, 0xbf3f9e67, v57
	v_fmac_f32_e32 v7, 0xbeb58ec6, v48
	v_mul_f32_e32 v87, 0xbf6f5d39, v22
	v_add_f32_e32 v17, v69, v17
	v_mul_f32_e32 v69, 0x3f7e222b, v51
	v_add_f32_e32 v7, v7, v6
	v_fma_f32 v6, v47, s6, -v87
	v_mul_f32_e32 v88, 0xbf788fa5, v49
	v_mov_b32_e32 v70, v69
	v_add_f32_e32 v6, v6, v8
	v_mov_b32_e32 v8, v88
	v_mul_f32_e32 v89, 0x3f62ad3f, v21
	v_fmac_f32_e32 v70, 0x3df6dbef, v46
	v_mul_f32_e32 v71, 0x3f62ad3f, v48
	v_fmac_f32_e32 v8, 0x3e750f2a, v42
	v_mov_b32_e32 v9, v89
	v_add_f32_e32 v70, v70, v17
	v_mov_b32_e32 v17, v71
	v_add_f32_e32 v8, v36, v8
	v_fmac_f32_e32 v9, 0xbeedf032, v43
	v_mul_f32_e32 v90, 0xbf3f9e67, v23
	v_fmac_f32_e32 v17, 0xbeedf032, v45
	v_mul_f32_e32 v72, 0x3eedf032, v22
	v_add_f32_e32 v8, v9, v8
	v_mov_b32_e32 v9, v90
	v_add_f32_e32 v17, v17, v16
	v_mov_b32_e32 v16, v72
	v_fmac_f32_e32 v9, 0x3f29c268, v54
	v_mul_f32_e32 v91, 0x3f116cb1, v18
	v_fma_f32 v10, v49, s9, -v10
	v_fmac_f32_e32 v16, 0x3f62ad3f, v47
	v_mul_f32_e32 v49, 0x3f62ad3f, v49
	v_add_f32_e32 v8, v9, v8
	v_mov_b32_e32 v9, v91
	v_add_f32_e32 v16, v16, v70
	v_mov_b32_e32 v70, v49
	v_mul_f32_e32 v73, 0x3f116cb1, v21
	v_fmac_f32_e32 v9, 0xbf52af12, v55
	v_mul_f32_e32 v92, 0xbeb58ec6, v50
	v_fma_f32 v11, v21, s1, -v11
	v_fmac_f32_e32 v70, 0x3eedf032, v42
	v_mov_b32_e32 v21, v73
	v_add_f32_e32 v8, v9, v8
	v_mov_b32_e32 v9, v92
	v_add_f32_e32 v70, v36, v70
	v_fmac_f32_e32 v21, 0x3f52af12, v43
	v_fmac_f32_e32 v9, 0x3f6f5d39, v44
	v_mul_f32_e32 v93, 0xbe750f2a, v58
	v_add_f32_e32 v10, v36, v10
	v_add_f32_e32 v21, v21, v70
	v_mul_f32_e32 v70, 0x3df6dbef, v23
	v_add_f32_e32 v8, v9, v8
	v_mov_b32_e32 v9, v93
	v_mul_f32_e32 v94, 0x3eedf032, v60
	v_add_f32_e32 v10, v11, v10
	v_fma_f32 v11, v23, s8, -v78
	v_mov_b32_e32 v23, v70
	v_mul_f32_e32 v74, 0xbeb58ec6, v18
	v_fmac_f32_e32 v9, 0xbf788fa5, v53
	v_mov_b32_e32 v95, v94
	v_add_f32_e32 v10, v11, v10
	v_fma_f32 v11, v18, s0, -v79
	v_fmac_f32_e32 v23, 0x3f7e222b, v54
	v_mov_b32_e32 v18, v74
	v_add_f32_e32 v9, v35, v9
	v_fmac_f32_e32 v95, 0x3f62ad3f, v59
	v_add_f32_e32 v10, v11, v10
	v_fma_f32 v11, v50, s7, -v80
	v_add_f32_e32 v21, v23, v21
	v_fmac_f32_e32 v18, 0x3f6f5d39, v55
	v_mul_f32_e32 v50, 0xbf3f9e67, v50
	v_add_f32_e32 v9, v95, v9
	v_mul_f32_e32 v95, 0xbf29c268, v19
	v_add_f32_e32 v18, v18, v21
	v_mov_b32_e32 v21, v50
	v_mov_b32_e32 v96, v95
	v_fmac_f32_e32 v21, 0x3f29c268, v44
	v_mul_f32_e32 v58, 0xbeedf032, v58
	v_fmac_f32_e32 v96, 0xbf3f9e67, v56
	v_add_f32_e32 v18, v21, v18
	v_mov_b32_e32 v21, v58
	v_mul_f32_e32 v60, 0xbf52af12, v60
	v_add_f32_e32 v9, v96, v9
	v_mul_f32_e32 v96, 0x3f52af12, v20
	v_fmac_f32_e32 v81, 0xbf3f9e67, v53
	v_fmac_f32_e32 v21, 0x3f62ad3f, v53
	v_mov_b32_e32 v23, v60
	v_mul_f32_e32 v75, 0xbf7e222b, v19
	v_mov_b32_e32 v97, v96
	v_add_f32_e32 v10, v11, v10
	v_add_f32_e32 v11, v35, v81
	v_fmac_f32_e32 v82, 0x3df6dbef, v59
	v_add_f32_e32 v21, v35, v21
	v_fmac_f32_e32 v23, 0x3f116cb1, v59
	v_mov_b32_e32 v19, v75
	v_mul_f32_e32 v76, 0xbf6f5d39, v20
	v_fmac_f32_e32 v97, 0x3f116cb1, v57
	v_add_f32_e32 v11, v82, v11
	v_fmac_f32_e32 v83, 0x3f116cb1, v56
	v_add_f32_e32 v21, v23, v21
	v_fmac_f32_e32 v19, 0x3df6dbef, v56
	v_mov_b32_e32 v20, v76
	v_add_f32_e32 v9, v97, v9
	v_mul_f32_e32 v97, 0xbf6f5d39, v51
	v_add_f32_e32 v11, v83, v11
	v_fmac_f32_e32 v84, 0xbf788fa5, v57
	v_add_f32_e32 v19, v19, v21
	v_fmac_f32_e32 v20, 0xbeb58ec6, v57
	v_mul_f32_e32 v51, 0xbf29c268, v51
	v_add_f32_e32 v11, v84, v11
	v_fmac_f32_e32 v85, 0x3f62ad3f, v46
	v_add_f32_e32 v19, v20, v19
	v_mov_b32_e32 v20, v51
	v_mul_f32_e32 v99, 0x3df6dbef, v48
	v_add_f32_e32 v78, v85, v11
	v_fma_f32 v11, v48, s6, -v86
	v_fmac_f32_e32 v20, 0xbf3f9e67, v46
	v_mul_f32_e32 v48, 0xbf788fa5, v48
	v_add_f32_e32 v20, v20, v19
	v_mov_b32_e32 v19, v48
	v_fmac_f32_e32 v19, 0x3e750f2a, v45
	v_mul_f32_e32 v77, 0xbe750f2a, v22
	v_add_f32_e32 v19, v19, v18
	v_mov_b32_e32 v18, v77
	v_fmac_f32_e32 v18, 0xbf788fa5, v47
	v_fmac_f32_e32 v88, 0xbe750f2a, v42
	v_add_f32_e32 v18, v18, v20
	v_add_f32_e32 v20, v36, v88
	v_fmac_f32_e32 v89, 0x3eedf032, v43
	v_fma_f32 v21, v53, s0, -v93
	v_mul_f32_e32 v100, 0x3f7e222b, v22
	v_add_f32_e32 v20, v89, v20
	v_fmac_f32_e32 v90, 0xbf29c268, v54
	v_add_f32_e32 v21, v35, v21
	v_fma_f32 v22, v59, s7, -v94
	v_mov_b32_e32 v98, v97
	v_add_f32_e32 v20, v90, v20
	v_fmac_f32_e32 v91, 0x3f52af12, v55
	v_add_f32_e32 v21, v22, v21
	v_fma_f32 v22, v56, s9, -v95
	v_fmac_f32_e32 v98, 0xbeb58ec6, v46
	v_add_f32_e32 v20, v91, v20
	v_fmac_f32_e32 v92, 0xbf6f5d39, v44
	v_add_f32_e32 v21, v22, v21
	v_fma_f32 v22, v57, s8, -v96
	v_add_f32_e32 v98, v98, v9
	v_mov_b32_e32 v9, v99
	v_add_f32_e32 v20, v92, v20
	v_add_f32_e32 v21, v22, v21
	v_fma_f32 v22, v46, s6, -v97
	v_fmac_f32_e32 v99, 0x3f7e222b, v45
	v_fmac_f32_e32 v52, 0xbf52af12, v42
	v_fma_f32 v23, v53, s8, -v65
	v_fmac_f32_e32 v49, 0xbeedf032, v42
	v_fma_f32 v42, v53, s7, -v58
	v_add_f32_e32 v22, v22, v21
	v_add_f32_e32 v21, v99, v20
	v_fma_f32 v20, v47, s1, -v100
	v_add_f32_e32 v23, v35, v23
	v_add_f32_e32 v35, v35, v42
	;; [unrolled: 3-line block ×3, first 2 shown]
	v_fmac_f32_e32 v61, 0xbf6f5d39, v43
	v_add_f32_e32 v35, v42, v35
	v_fma_f32 v42, v56, s1, -v75
	v_add_f32_e32 v22, v61, v22
	v_fmac_f32_e32 v62, 0xbe750f2a, v54
	v_fma_f32 v52, v59, s6, -v66
	v_fmac_f32_e32 v73, 0xbf52af12, v43
	v_add_f32_e32 v36, v36, v49
	v_add_f32_e32 v35, v42, v35
	v_fma_f32 v42, v57, s6, -v76
	v_add_f32_e32 v22, v62, v22
	v_fmac_f32_e32 v63, 0x3f29c268, v55
	v_add_f32_e32 v23, v52, v23
	v_fma_f32 v52, v56, s0, -v67
	v_add_f32_e32 v36, v73, v36
	v_fmac_f32_e32 v70, 0xbf7e222b, v54
	v_add_f32_e32 v35, v42, v35
	v_fma_f32 v42, v46, s9, -v51
	v_fmac_f32_e32 v9, 0xbf7e222b, v45
	v_add_f32_e32 v22, v63, v22
	v_fmac_f32_e32 v64, 0x3f7e222b, v44
	v_add_f32_e32 v23, v52, v23
	v_fma_f32 v52, v57, s9, -v68
	v_add_f32_e32 v36, v70, v36
	v_fmac_f32_e32 v74, 0xbf6f5d39, v55
	v_add_f32_e32 v35, v42, v35
	v_fma_f32 v42, v47, s0, -v77
	v_add_f32_e32 v9, v9, v8
	v_mov_b32_e32 v8, v100
	v_add_f32_e32 v22, v64, v22
	v_add_f32_e32 v23, v52, v23
	v_fma_f32 v52, v46, s1, -v69
	v_fmac_f32_e32 v71, 0x3eedf032, v45
	v_add_f32_e32 v36, v74, v36
	v_fmac_f32_e32 v50, 0xbf29c268, v44
	v_add_f32_e32 v35, v42, v35
	v_mul_u32_u24_e32 v42, 0x60, v31
	v_fmac_f32_e32 v8, 0x3df6dbef, v47
	v_fmac_f32_e32 v87, 0xbeb58ec6, v47
	v_add_f32_e32 v52, v52, v23
	v_add_f32_e32 v23, v71, v22
	v_fma_f32 v22, v47, s7, -v72
	v_add_f32_e32 v36, v50, v36
	v_fmac_f32_e32 v48, 0xbe750f2a, v45
	v_add3_u32 v42, v41, v42, v39
	v_add_f32_e32 v8, v8, v98
	v_add_f32_e32 v11, v11, v10
	;; [unrolled: 1-line block ×5, first 2 shown]
	ds_write2_b64 v42, v[0:1], v[18:19] offset1:1
	ds_write2_b64 v42, v[16:17], v[14:15] offset0:2 offset1:3
	ds_write2_b64 v42, v[12:13], v[10:11] offset0:4 offset1:5
	;; [unrolled: 1-line block ×5, first 2 shown]
	ds_write_b64 v42, v[35:36] offset:96
.LBB0_21:
	s_or_b64 exec, exec, s[4:5]
	v_add_u32_e32 v0, -13, v31
	v_cmp_gt_u32_e64 s[0:1], 13, v31
	v_cndmask_b32_e64 v59, v0, v31, s[0:1]
	v_mul_i32_i24_e32 v0, 3, v59
	v_mov_b32_e32 v1, v32
	v_lshlrev_b64 v[0:1], 3, v[0:1]
	v_mov_b32_e32 v60, s13
	v_add_co_u32_e64 v4, s[0:1], s12, v0
	v_addc_co_u32_e64 v5, s[0:1], v60, v1, s[0:1]
	v_add_u32_e32 v58, 26, v31
	s_movk_i32 s0, 0x4f
	s_waitcnt lgkmcnt(0)
	; wave barrier
	s_waitcnt lgkmcnt(0)
	global_load_dwordx2 v[35:36], v[4:5], off offset:16
	global_load_dwordx4 v[0:3], v[4:5], off
	v_mul_lo_u16_sdwa v4, v58, s0 dst_sel:DWORD dst_unused:UNUSED_PAD src0_sel:BYTE_0 src1_sel:DWORD
	v_lshrrev_b16_e32 v61, 10, v4
	v_mul_lo_u16_e32 v4, 13, v61
	v_sub_u16_e32 v62, v58, v4
	v_mov_b32_e32 v63, 3
	v_mul_u32_u24_sdwa v4, v62, v63 dst_sel:DWORD dst_unused:UNUSED_PAD src0_sel:BYTE_0 src1_sel:DWORD
	v_lshlrev_b32_e32 v8, 3, v4
	global_load_dwordx2 v[50:51], v8, s[12:13] offset:16
	global_load_dwordx4 v[4:7], v8, s[12:13]
	v_add_u16_e32 v8, 52, v31
	v_mul_lo_u16_sdwa v9, v8, s0 dst_sel:DWORD dst_unused:UNUSED_PAD src0_sel:BYTE_0 src1_sel:DWORD
	v_lshrrev_b16_e32 v64, 10, v9
	v_mul_lo_u16_e32 v9, 13, v64
	v_sub_u16_e32 v65, v8, v9
	v_mul_u32_u24_sdwa v8, v65, v63 dst_sel:DWORD dst_unused:UNUSED_PAD src0_sel:BYTE_0 src1_sel:DWORD
	v_lshlrev_b32_e32 v12, 3, v8
	global_load_dwordx4 v[8:11], v12, s[12:13]
	global_load_dwordx2 v[52:53], v12, s[12:13] offset:16
	ds_read2_b64 v[12:15], v40 offset0:78 offset1:104
	ds_read2_b64 v[16:19], v40 offset0:130 offset1:156
	v_add_u32_e32 v66, 0x400, v40
	ds_read2_b64 v[20:23], v40 offset0:26 offset1:52
	ds_read2_b64 v[42:45], v40 offset0:182 offset1:208
	ds_read_b64 v[54:55], v38
	ds_read_b64 v[56:57], v40 offset:2288
	ds_read2_b64 v[46:49], v66 offset0:106 offset1:132
	v_cmp_lt_u32_e64 s[0:1], 12, v31
	s_movk_i32 s4, 0x1a0
	s_waitcnt lgkmcnt(0)
	; wave barrier
	s_waitcnt lgkmcnt(0)
	v_lshlrev_b32_e32 v31, 1, v31
	s_waitcnt vmcnt(5)
	v_mul_f32_e32 v69, v36, v47
	s_waitcnt vmcnt(4)
	v_mul_f32_e32 v67, v1, v13
	v_mul_f32_e32 v1, v1, v12
	;; [unrolled: 1-line block ×5, first 2 shown]
	v_fmac_f32_e32 v67, v0, v12
	v_fma_f32 v0, v0, v13, -v1
	v_fmac_f32_e32 v68, v2, v18
	v_fma_f32 v1, v2, v19, -v3
	;; [unrolled: 2-line block ×3, first 2 shown]
	s_waitcnt vmcnt(2)
	v_mul_f32_e32 v12, v5, v15
	v_mul_f32_e32 v3, v5, v14
	;; [unrolled: 1-line block ×6, first 2 shown]
	s_waitcnt vmcnt(1)
	v_mul_f32_e32 v35, v45, v11
	v_mul_f32_e32 v19, v17, v9
	;; [unrolled: 1-line block ×4, first 2 shown]
	s_waitcnt vmcnt(0)
	v_mul_f32_e32 v36, v57, v53
	v_mul_f32_e32 v46, v56, v53
	v_fmac_f32_e32 v12, v4, v14
	v_fma_f32 v14, v4, v15, -v3
	v_fmac_f32_e32 v13, v42, v6
	v_fma_f32 v15, v43, v6, -v5
	;; [unrolled: 2-line block ×3, first 2 shown]
	v_fmac_f32_e32 v35, v44, v10
	v_sub_f32_e32 v6, v54, v68
	v_sub_f32_e32 v7, v55, v1
	;; [unrolled: 1-line block ×4, first 2 shown]
	v_fmac_f32_e32 v19, v16, v8
	v_fma_f32 v16, v17, v8, -v9
	v_fma_f32 v17, v45, v10, -v11
	v_fmac_f32_e32 v36, v56, v52
	v_fma_f32 v43, v57, v52, -v46
	v_fma_f32 v4, v54, 2.0, -v6
	v_fma_f32 v5, v55, 2.0, -v7
	;; [unrolled: 1-line block ×4, first 2 shown]
	v_sub_f32_e32 v44, v20, v13
	v_sub_f32_e32 v15, v21, v15
	;; [unrolled: 1-line block ×5, first 2 shown]
	v_add_f32_e32 v0, v6, v2
	v_sub_f32_e32 v2, v4, v3
	v_sub_f32_e32 v3, v5, v8
	v_fma_f32 v11, v21, 2.0, -v15
	v_fma_f32 v8, v12, 2.0, -v13
	v_fma_f32 v9, v14, 2.0, -v18
	v_add_f32_e32 v12, v44, v18
	v_sub_f32_e32 v42, v23, v17
	v_fma_f32 v18, v22, 2.0, -v35
	v_sub_f32_e32 v21, v19, v36
	v_sub_f32_e32 v22, v16, v43
	v_fma_f32 v10, v20, 2.0, -v44
	v_fma_f32 v20, v23, 2.0, -v42
	;; [unrolled: 1-line block ×4, first 2 shown]
	v_sub_f32_e32 v16, v18, v17
	v_sub_f32_e32 v17, v20, v19
	v_fma_f32 v19, v20, 2.0, -v17
	v_add_f32_e32 v20, v35, v22
	v_fma_f32 v22, v35, 2.0, -v20
	v_mov_b32_e32 v35, 0x1a0
	v_cndmask_b32_e64 v35, 0, v35, s[0:1]
	v_sub_f32_e32 v1, v7, v1
	v_add_u32_e32 v35, 0, v35
	v_lshlrev_b32_e32 v36, 3, v59
	v_fma_f32 v4, v4, 2.0, -v2
	v_fma_f32 v5, v5, 2.0, -v3
	;; [unrolled: 1-line block ×4, first 2 shown]
	v_add3_u32 v35, v35, v36, v39
	v_sub_f32_e32 v8, v10, v8
	v_sub_f32_e32 v9, v11, v9
	;; [unrolled: 1-line block ×3, first 2 shown]
	ds_write2_b64 v35, v[4:5], v[6:7] offset1:13
	ds_write2_b64 v35, v[2:3], v[0:1] offset0:26 offset1:39
	v_mad_u32_u24 v0, v61, s4, 0
	v_lshlrev_b32_sdwa v1, v63, v62 dst_sel:DWORD dst_unused:UNUSED_PAD src0_sel:DWORD src1_sel:BYTE_0
	v_fma_f32 v10, v10, 2.0, -v8
	v_fma_f32 v11, v11, 2.0, -v9
	;; [unrolled: 1-line block ×4, first 2 shown]
	v_add3_u32 v0, v0, v1, v39
	v_sub_f32_e32 v21, v42, v21
	ds_write2_b64 v0, v[10:11], v[14:15] offset1:13
	ds_write2_b64 v0, v[8:9], v[12:13] offset0:26 offset1:39
	v_mad_u32_u24 v0, v64, s4, 0
	v_lshlrev_b32_sdwa v1, v63, v65 dst_sel:DWORD dst_unused:UNUSED_PAD src0_sel:DWORD src1_sel:BYTE_0
	v_fma_f32 v18, v18, 2.0, -v16
	v_fma_f32 v23, v42, 2.0, -v21
	v_add3_u32 v0, v0, v1, v39
	ds_write2_b64 v0, v[18:19], v[22:23] offset1:13
	ds_write2_b64 v0, v[16:17], v[20:21] offset0:26 offset1:39
	v_lshlrev_b64 v[0:1], 3, v[31:32]
	v_lshlrev_b32_e32 v31, 1, v58
	v_add_co_u32_e64 v0, s[0:1], s12, v0
	v_addc_co_u32_e64 v1, s[0:1], v60, v1, s[0:1]
	v_lshlrev_b64 v[4:5], 3, v[31:32]
	s_waitcnt lgkmcnt(0)
	; wave barrier
	s_waitcnt lgkmcnt(0)
	global_load_dwordx4 v[0:3], v[0:1], off offset:312
	v_add_co_u32_e64 v4, s[0:1], s12, v4
	v_addc_co_u32_e64 v5, s[0:1], v60, v5, s[0:1]
	global_load_dwordx4 v[4:7], v[4:5], off offset:312
	v_add_u32_e32 v45, v41, v39
	ds_read2_b64 v[8:11], v40 offset0:78 offset1:104
	ds_read2_b64 v[12:15], v40 offset0:182 offset1:208
	;; [unrolled: 1-line block ×5, first 2 shown]
	ds_read_b64 v[31:32], v38
	ds_read_b64 v[35:36], v40 offset:2288
	s_waitcnt lgkmcnt(0)
	; wave barrier
	s_waitcnt vmcnt(1) lgkmcnt(0)
	v_mul_f32_e32 v39, v1, v11
	v_mul_f32_e32 v46, v1, v10
	v_fmac_f32_e32 v39, v0, v10
	v_fma_f32 v10, v0, v11, -v46
	v_mul_f32_e32 v11, v3, v15
	v_fmac_f32_e32 v11, v2, v14
	v_mul_f32_e32 v14, v3, v14
	v_fma_f32 v14, v2, v15, -v14
	s_waitcnt vmcnt(0)
	v_mul_f32_e32 v15, v5, v21
	v_fmac_f32_e32 v15, v4, v20
	v_mul_f32_e32 v20, v5, v20
	v_fma_f32 v20, v4, v21, -v20
	v_mul_f32_e32 v21, v7, v42
	v_fmac_f32_e32 v21, v6, v41
	v_mul_f32_e32 v41, v7, v41
	v_fma_f32 v41, v6, v42, -v41
	v_mul_f32_e32 v42, v1, v23
	v_mul_f32_e32 v1, v1, v22
	v_fmac_f32_e32 v42, v0, v22
	v_fma_f32 v22, v0, v23, -v1
	v_mul_f32_e32 v23, v44, v3
	v_mul_f32_e32 v0, v43, v3
	v_fmac_f32_e32 v23, v43, v2
	v_fma_f32 v43, v44, v2, -v0
	v_mul_f32_e32 v0, v12, v5
	v_fma_f32 v46, v13, v4, -v0
	v_mul_f32_e32 v47, v36, v7
	v_mul_f32_e32 v0, v35, v7
	v_add_f32_e32 v1, v39, v11
	v_fmac_f32_e32 v47, v35, v6
	v_fma_f32 v35, v36, v6, -v0
	v_add_f32_e32 v0, v31, v39
	v_fma_f32 v31, -0.5, v1, v31
	v_add_f32_e32 v7, v20, v41
	v_mul_f32_e32 v44, v13, v5
	v_sub_f32_e32 v1, v10, v14
	v_mov_b32_e32 v2, v31
	v_add_f32_e32 v3, v10, v14
	v_fma_f32 v7, -0.5, v7, v17
	v_fmac_f32_e32 v44, v12, v4
	v_add_f32_e32 v0, v0, v11
	v_fmac_f32_e32 v2, 0xbf5db3d7, v1
	v_fmac_f32_e32 v31, 0x3f5db3d7, v1
	v_add_f32_e32 v1, v32, v10
	v_fmac_f32_e32 v32, -0.5, v3
	v_sub_f32_e32 v4, v39, v11
	v_sub_f32_e32 v12, v15, v21
	v_mov_b32_e32 v11, v7
	v_add_f32_e32 v13, v42, v23
	v_mov_b32_e32 v3, v32
	v_add_f32_e32 v5, v15, v21
	v_fmac_f32_e32 v11, 0x3f5db3d7, v12
	v_fmac_f32_e32 v7, 0xbf5db3d7, v12
	v_add_f32_e32 v12, v18, v42
	v_fma_f32 v18, -0.5, v13, v18
	v_add_f32_e32 v1, v1, v14
	v_fmac_f32_e32 v3, 0x3f5db3d7, v4
	v_fmac_f32_e32 v32, 0xbf5db3d7, v4
	v_add_f32_e32 v4, v16, v15
	v_fma_f32 v6, -0.5, v5, v16
	v_sub_f32_e32 v13, v22, v43
	v_mov_b32_e32 v14, v18
	v_add_f32_e32 v15, v22, v43
	v_sub_f32_e32 v5, v20, v41
	v_mov_b32_e32 v10, v6
	v_fmac_f32_e32 v14, 0xbf5db3d7, v13
	v_fmac_f32_e32 v18, 0x3f5db3d7, v13
	v_add_f32_e32 v13, v19, v22
	v_fmac_f32_e32 v19, -0.5, v15
	v_fmac_f32_e32 v10, 0xbf5db3d7, v5
	v_fmac_f32_e32 v6, 0x3f5db3d7, v5
	v_add_f32_e32 v5, v17, v20
	v_sub_f32_e32 v16, v42, v23
	v_mov_b32_e32 v15, v19
	v_add_f32_e32 v17, v44, v47
	v_fmac_f32_e32 v15, 0x3f5db3d7, v16
	v_fmac_f32_e32 v19, 0xbf5db3d7, v16
	v_add_f32_e32 v16, v8, v44
	v_fma_f32 v8, -0.5, v17, v8
	v_add_f32_e32 v4, v4, v21
	v_sub_f32_e32 v17, v46, v35
	v_mov_b32_e32 v20, v8
	v_add_f32_e32 v21, v46, v35
	v_fmac_f32_e32 v20, 0xbf5db3d7, v17
	v_fmac_f32_e32 v8, 0x3f5db3d7, v17
	v_add_f32_e32 v17, v9, v46
	v_fmac_f32_e32 v9, -0.5, v21
	v_sub_f32_e32 v22, v44, v47
	v_mov_b32_e32 v21, v9
	v_add_f32_e32 v5, v5, v41
	v_add_f32_e32 v12, v12, v23
	;; [unrolled: 1-line block ×5, first 2 shown]
	v_fmac_f32_e32 v21, 0x3f5db3d7, v22
	v_fmac_f32_e32 v9, 0xbf5db3d7, v22
	ds_write2_b64 v40, v[2:3], v[31:32] offset0:52 offset1:104
	ds_write2_b64 v40, v[0:1], v[4:5] offset1:26
	ds_write2_b64 v45, v[10:11], v[6:7] offset0:78 offset1:130
	ds_write2_b64 v40, v[12:13], v[14:15] offset0:156 offset1:208
	ds_write_b64 v40, v[18:19] offset:2080
	ds_write2_b64 v45, v[16:17], v[20:21] offset0:182 offset1:234
	ds_write_b64 v45, v[8:9] offset:2288
	v_add_co_u32_e64 v0, s[0:1], s12, v29
	v_addc_co_u32_e64 v1, s[0:1], v60, v30, s[0:1]
	s_waitcnt lgkmcnt(0)
	; wave barrier
	s_waitcnt lgkmcnt(0)
	global_load_dwordx2 v[20:21], v[0:1], off offset:1144
	v_add_co_u32_e64 v0, s[0:1], s12, v33
	v_addc_co_u32_e64 v1, s[0:1], v60, v34, s[0:1]
	global_load_dwordx2 v[22:23], v[0:1], off offset:1352
	global_load_dwordx2 v[29:30], v[0:1], off offset:1560
	;; [unrolled: 1-line block ×5, first 2 shown]
	ds_read2_b64 v[0:3], v40 offset0:130 offset1:156
	ds_read2_b64 v[4:7], v40 offset0:26 offset1:52
	;; [unrolled: 1-line block ×5, first 2 shown]
	ds_read_b64 v[38:39], v38
	ds_read_b64 v[41:42], v40 offset:2288
	s_waitcnt lgkmcnt(0)
	; wave barrier
	s_waitcnt vmcnt(5) lgkmcnt(0)
	v_mul_f32_e32 v43, v21, v3
	v_fmac_f32_e32 v43, v20, v2
	v_mul_f32_e32 v2, v21, v2
	v_fma_f32 v3, v20, v3, -v2
	s_waitcnt vmcnt(4)
	v_mul_f32_e32 v20, v23, v9
	v_mul_f32_e32 v2, v23, v8
	v_fmac_f32_e32 v20, v22, v8
	v_fma_f32 v21, v22, v9, -v2
	s_waitcnt vmcnt(3)
	v_mul_f32_e32 v22, v30, v11
	v_mul_f32_e32 v2, v30, v10
	v_fmac_f32_e32 v22, v29, v10
	;; [unrolled: 5-line block ×5, first 2 shown]
	v_fma_f32 v34, v42, v35, -v2
	v_sub_f32_e32 v2, v38, v43
	v_sub_f32_e32 v3, v39, v3
	;; [unrolled: 1-line block ×8, first 2 shown]
	v_fma_f32 v8, v38, 2.0, -v2
	v_fma_f32 v9, v39, 2.0, -v3
	;; [unrolled: 1-line block ×8, first 2 shown]
	v_sub_f32_e32 v20, v14, v31
	v_sub_f32_e32 v21, v15, v32
	;; [unrolled: 1-line block ×4, first 2 shown]
	ds_write_b64 v40, v[2:3] offset:1248
	ds_write2_b64 v40, v[8:9], v[4:5] offset1:26
	ds_write2_b64 v45, v[10:11], v[16:17] offset0:182 offset1:208
	ds_write2_b64 v40, v[6:7], v[12:13] offset0:52 offset1:78
	v_add_u32_e32 v2, 0x400, v45
	v_fma_f32 v14, v14, 2.0, -v20
	v_fma_f32 v15, v15, 2.0, -v21
	;; [unrolled: 1-line block ×4, first 2 shown]
	ds_write2_b64 v2, v[18:19], v[20:21] offset0:106 offset1:132
	ds_write2_b64 v40, v[14:15], v[0:1] offset0:104 offset1:130
	ds_write_b64 v45, v[22:23] offset:2288
	s_waitcnt lgkmcnt(0)
	; wave barrier
	s_waitcnt lgkmcnt(0)
	s_and_saveexec_b64 s[0:1], vcc
	s_cbranch_execz .LBB0_23
; %bb.22:
	v_mul_lo_u32 v0, s3, v26
	v_mul_lo_u32 v1, s2, v27
	v_mad_u64_u32 v[4:5], s[0:1], s2, v26, 0
	v_mov_b32_e32 v7, s11
	v_lshl_add_u32 v6, v28, 3, v37
	v_add3_u32 v5, v5, v1, v0
	v_lshlrev_b64 v[4:5], 3, v[4:5]
	v_mov_b32_e32 v29, 0
	v_add_co_u32_e32 v8, vcc, s10, v4
	v_addc_co_u32_e32 v7, vcc, v7, v5, vcc
	v_lshlrev_b64 v[4:5], 3, v[24:25]
	ds_read2_b64 v[0:3], v6 offset1:26
	v_add_co_u32_e32 v8, vcc, v8, v4
	v_addc_co_u32_e32 v7, vcc, v7, v5, vcc
	v_lshlrev_b64 v[4:5], 3, v[28:29]
	v_add_co_u32_e32 v4, vcc, v8, v4
	v_addc_co_u32_e32 v5, vcc, v7, v5, vcc
	s_waitcnt lgkmcnt(0)
	global_store_dwordx2 v[4:5], v[0:1], off
	v_add_u32_e32 v0, 26, v28
	v_mov_b32_e32 v1, v29
	v_lshlrev_b64 v[0:1], 3, v[0:1]
	v_add_u32_e32 v4, 52, v28
	v_add_co_u32_e32 v0, vcc, v8, v0
	v_addc_co_u32_e32 v1, vcc, v7, v1, vcc
	global_store_dwordx2 v[0:1], v[2:3], off
	v_mov_b32_e32 v5, v29
	ds_read2_b64 v[0:3], v6 offset0:52 offset1:78
	v_lshlrev_b64 v[4:5], 3, v[4:5]
	v_add_co_u32_e32 v4, vcc, v8, v4
	v_addc_co_u32_e32 v5, vcc, v7, v5, vcc
	s_waitcnt lgkmcnt(0)
	global_store_dwordx2 v[4:5], v[0:1], off
	v_add_u32_e32 v0, 0x4e, v28
	v_mov_b32_e32 v1, v29
	v_lshlrev_b64 v[0:1], 3, v[0:1]
	v_add_u32_e32 v4, 0x68, v28
	v_add_co_u32_e32 v0, vcc, v8, v0
	v_addc_co_u32_e32 v1, vcc, v7, v1, vcc
	global_store_dwordx2 v[0:1], v[2:3], off
	v_mov_b32_e32 v5, v29
	ds_read2_b64 v[0:3], v6 offset0:104 offset1:130
	;; [unrolled: 14-line block ×4, first 2 shown]
	v_lshlrev_b64 v[4:5], 3, v[4:5]
	v_add_co_u32_e32 v4, vcc, v8, v4
	v_addc_co_u32_e32 v5, vcc, v7, v5, vcc
	s_waitcnt lgkmcnt(0)
	global_store_dwordx2 v[4:5], v[0:1], off
	v_add_u32_e32 v0, 0xea, v28
	v_mov_b32_e32 v1, v29
	v_lshlrev_b64 v[0:1], 3, v[0:1]
	v_add_u32_e32 v4, 0x104, v28
	v_add_co_u32_e32 v0, vcc, v8, v0
	v_addc_co_u32_e32 v1, vcc, v7, v1, vcc
	global_store_dwordx2 v[0:1], v[2:3], off
	v_add_u32_e32 v0, 0x800, v6
	v_mov_b32_e32 v5, v29
	ds_read2_b64 v[0:3], v0 offset0:4 offset1:30
	v_lshlrev_b64 v[4:5], 3, v[4:5]
	v_add_u32_e32 v28, 0x11e, v28
	v_add_co_u32_e32 v4, vcc, v8, v4
	v_addc_co_u32_e32 v5, vcc, v7, v5, vcc
	s_waitcnt lgkmcnt(0)
	global_store_dwordx2 v[4:5], v[0:1], off
	v_lshlrev_b64 v[0:1], 3, v[28:29]
	v_add_co_u32_e32 v0, vcc, v8, v0
	v_addc_co_u32_e32 v1, vcc, v7, v1, vcc
	global_store_dwordx2 v[0:1], v[2:3], off
.LBB0_23:
	s_endpgm
	.section	.rodata,"a",@progbits
	.p2align	6, 0x0
	.amdhsa_kernel fft_rtc_back_len312_factors_13_4_3_2_wgs_52_tpt_26_sp_op_CI_CI_unitstride_sbrr_C2R_dirReg
		.amdhsa_group_segment_fixed_size 0
		.amdhsa_private_segment_fixed_size 0
		.amdhsa_kernarg_size 104
		.amdhsa_user_sgpr_count 6
		.amdhsa_user_sgpr_private_segment_buffer 1
		.amdhsa_user_sgpr_dispatch_ptr 0
		.amdhsa_user_sgpr_queue_ptr 0
		.amdhsa_user_sgpr_kernarg_segment_ptr 1
		.amdhsa_user_sgpr_dispatch_id 0
		.amdhsa_user_sgpr_flat_scratch_init 0
		.amdhsa_user_sgpr_private_segment_size 0
		.amdhsa_uses_dynamic_stack 0
		.amdhsa_system_sgpr_private_segment_wavefront_offset 0
		.amdhsa_system_sgpr_workgroup_id_x 1
		.amdhsa_system_sgpr_workgroup_id_y 0
		.amdhsa_system_sgpr_workgroup_id_z 0
		.amdhsa_system_sgpr_workgroup_info 0
		.amdhsa_system_vgpr_workitem_id 0
		.amdhsa_next_free_vgpr 101
		.amdhsa_next_free_sgpr 28
		.amdhsa_reserve_vcc 1
		.amdhsa_reserve_flat_scratch 0
		.amdhsa_float_round_mode_32 0
		.amdhsa_float_round_mode_16_64 0
		.amdhsa_float_denorm_mode_32 3
		.amdhsa_float_denorm_mode_16_64 3
		.amdhsa_dx10_clamp 1
		.amdhsa_ieee_mode 1
		.amdhsa_fp16_overflow 0
		.amdhsa_exception_fp_ieee_invalid_op 0
		.amdhsa_exception_fp_denorm_src 0
		.amdhsa_exception_fp_ieee_div_zero 0
		.amdhsa_exception_fp_ieee_overflow 0
		.amdhsa_exception_fp_ieee_underflow 0
		.amdhsa_exception_fp_ieee_inexact 0
		.amdhsa_exception_int_div_zero 0
	.end_amdhsa_kernel
	.text
.Lfunc_end0:
	.size	fft_rtc_back_len312_factors_13_4_3_2_wgs_52_tpt_26_sp_op_CI_CI_unitstride_sbrr_C2R_dirReg, .Lfunc_end0-fft_rtc_back_len312_factors_13_4_3_2_wgs_52_tpt_26_sp_op_CI_CI_unitstride_sbrr_C2R_dirReg
                                        ; -- End function
	.section	.AMDGPU.csdata,"",@progbits
; Kernel info:
; codeLenInByte = 8152
; NumSgprs: 32
; NumVgprs: 101
; ScratchSize: 0
; MemoryBound: 0
; FloatMode: 240
; IeeeMode: 1
; LDSByteSize: 0 bytes/workgroup (compile time only)
; SGPRBlocks: 3
; VGPRBlocks: 25
; NumSGPRsForWavesPerEU: 32
; NumVGPRsForWavesPerEU: 101
; Occupancy: 2
; WaveLimiterHint : 1
; COMPUTE_PGM_RSRC2:SCRATCH_EN: 0
; COMPUTE_PGM_RSRC2:USER_SGPR: 6
; COMPUTE_PGM_RSRC2:TRAP_HANDLER: 0
; COMPUTE_PGM_RSRC2:TGID_X_EN: 1
; COMPUTE_PGM_RSRC2:TGID_Y_EN: 0
; COMPUTE_PGM_RSRC2:TGID_Z_EN: 0
; COMPUTE_PGM_RSRC2:TIDIG_COMP_CNT: 0
	.type	__hip_cuid_ea3029c5a8713318,@object ; @__hip_cuid_ea3029c5a8713318
	.section	.bss,"aw",@nobits
	.globl	__hip_cuid_ea3029c5a8713318
__hip_cuid_ea3029c5a8713318:
	.byte	0                               ; 0x0
	.size	__hip_cuid_ea3029c5a8713318, 1

	.ident	"AMD clang version 19.0.0git (https://github.com/RadeonOpenCompute/llvm-project roc-6.4.0 25133 c7fe45cf4b819c5991fe208aaa96edf142730f1d)"
	.section	".note.GNU-stack","",@progbits
	.addrsig
	.addrsig_sym __hip_cuid_ea3029c5a8713318
	.amdgpu_metadata
---
amdhsa.kernels:
  - .args:
      - .actual_access:  read_only
        .address_space:  global
        .offset:         0
        .size:           8
        .value_kind:     global_buffer
      - .offset:         8
        .size:           8
        .value_kind:     by_value
      - .actual_access:  read_only
        .address_space:  global
        .offset:         16
        .size:           8
        .value_kind:     global_buffer
      - .actual_access:  read_only
        .address_space:  global
        .offset:         24
        .size:           8
        .value_kind:     global_buffer
      - .actual_access:  read_only
        .address_space:  global
        .offset:         32
        .size:           8
        .value_kind:     global_buffer
      - .offset:         40
        .size:           8
        .value_kind:     by_value
      - .actual_access:  read_only
        .address_space:  global
        .offset:         48
        .size:           8
        .value_kind:     global_buffer
      - .actual_access:  read_only
        .address_space:  global
        .offset:         56
        .size:           8
        .value_kind:     global_buffer
      - .offset:         64
        .size:           4
        .value_kind:     by_value
      - .actual_access:  read_only
        .address_space:  global
        .offset:         72
        .size:           8
        .value_kind:     global_buffer
      - .actual_access:  read_only
        .address_space:  global
        .offset:         80
        .size:           8
        .value_kind:     global_buffer
      - .actual_access:  read_only
        .address_space:  global
        .offset:         88
        .size:           8
        .value_kind:     global_buffer
      - .actual_access:  write_only
        .address_space:  global
        .offset:         96
        .size:           8
        .value_kind:     global_buffer
    .group_segment_fixed_size: 0
    .kernarg_segment_align: 8
    .kernarg_segment_size: 104
    .language:       OpenCL C
    .language_version:
      - 2
      - 0
    .max_flat_workgroup_size: 52
    .name:           fft_rtc_back_len312_factors_13_4_3_2_wgs_52_tpt_26_sp_op_CI_CI_unitstride_sbrr_C2R_dirReg
    .private_segment_fixed_size: 0
    .sgpr_count:     32
    .sgpr_spill_count: 0
    .symbol:         fft_rtc_back_len312_factors_13_4_3_2_wgs_52_tpt_26_sp_op_CI_CI_unitstride_sbrr_C2R_dirReg.kd
    .uniform_work_group_size: 1
    .uses_dynamic_stack: false
    .vgpr_count:     101
    .vgpr_spill_count: 0
    .wavefront_size: 64
amdhsa.target:   amdgcn-amd-amdhsa--gfx906
amdhsa.version:
  - 1
  - 2
...

	.end_amdgpu_metadata
